;; amdgpu-corpus repo=ROCm/rocFFT kind=compiled arch=gfx906 opt=O3
	.text
	.amdgcn_target "amdgcn-amd-amdhsa--gfx906"
	.amdhsa_code_object_version 6
	.protected	fft_rtc_fwd_len560_factors_8_7_5_2_wgs_56_tpt_56_dp_ip_CI_unitstride_sbrr_R2C_dirReg ; -- Begin function fft_rtc_fwd_len560_factors_8_7_5_2_wgs_56_tpt_56_dp_ip_CI_unitstride_sbrr_R2C_dirReg
	.globl	fft_rtc_fwd_len560_factors_8_7_5_2_wgs_56_tpt_56_dp_ip_CI_unitstride_sbrr_R2C_dirReg
	.p2align	8
	.type	fft_rtc_fwd_len560_factors_8_7_5_2_wgs_56_tpt_56_dp_ip_CI_unitstride_sbrr_R2C_dirReg,@function
fft_rtc_fwd_len560_factors_8_7_5_2_wgs_56_tpt_56_dp_ip_CI_unitstride_sbrr_R2C_dirReg: ; @fft_rtc_fwd_len560_factors_8_7_5_2_wgs_56_tpt_56_dp_ip_CI_unitstride_sbrr_R2C_dirReg
; %bb.0:
	s_load_dwordx2 s[2:3], s[4:5], 0x50
	s_load_dwordx4 s[8:11], s[4:5], 0x0
	s_load_dwordx2 s[12:13], s[4:5], 0x18
	v_mul_u32_u24_e32 v1, 0x493, v0
	v_add_u32_sdwa v5, s6, v1 dst_sel:DWORD dst_unused:UNUSED_PAD src0_sel:DWORD src1_sel:WORD_1
	v_mov_b32_e32 v3, 0
	s_waitcnt lgkmcnt(0)
	v_cmp_lt_u64_e64 s[0:1], s[10:11], 2
	v_mov_b32_e32 v1, 0
	v_mov_b32_e32 v6, v3
	s_and_b64 vcc, exec, s[0:1]
	v_mov_b32_e32 v2, 0
	s_cbranch_vccnz .LBB0_8
; %bb.1:
	s_load_dwordx2 s[0:1], s[4:5], 0x10
	s_add_u32 s6, s12, 8
	s_addc_u32 s7, s13, 0
	v_mov_b32_e32 v1, 0
	v_mov_b32_e32 v2, 0
	s_waitcnt lgkmcnt(0)
	s_add_u32 s14, s0, 8
	s_addc_u32 s15, s1, 0
	s_mov_b64 s[16:17], 1
.LBB0_2:                                ; =>This Inner Loop Header: Depth=1
	s_load_dwordx2 s[18:19], s[14:15], 0x0
                                        ; implicit-def: $vgpr7_vgpr8
	s_waitcnt lgkmcnt(0)
	v_or_b32_e32 v4, s19, v6
	v_cmp_ne_u64_e32 vcc, 0, v[3:4]
	s_and_saveexec_b64 s[0:1], vcc
	s_xor_b64 s[20:21], exec, s[0:1]
	s_cbranch_execz .LBB0_4
; %bb.3:                                ;   in Loop: Header=BB0_2 Depth=1
	v_cvt_f32_u32_e32 v4, s18
	v_cvt_f32_u32_e32 v7, s19
	s_sub_u32 s0, 0, s18
	s_subb_u32 s1, 0, s19
	v_mac_f32_e32 v4, 0x4f800000, v7
	v_rcp_f32_e32 v4, v4
	v_mul_f32_e32 v4, 0x5f7ffffc, v4
	v_mul_f32_e32 v7, 0x2f800000, v4
	v_trunc_f32_e32 v7, v7
	v_mac_f32_e32 v4, 0xcf800000, v7
	v_cvt_u32_f32_e32 v7, v7
	v_cvt_u32_f32_e32 v4, v4
	v_mul_lo_u32 v8, s0, v7
	v_mul_hi_u32 v9, s0, v4
	v_mul_lo_u32 v11, s1, v4
	v_mul_lo_u32 v10, s0, v4
	v_add_u32_e32 v8, v9, v8
	v_add_u32_e32 v8, v8, v11
	v_mul_hi_u32 v9, v4, v10
	v_mul_lo_u32 v11, v4, v8
	v_mul_hi_u32 v13, v4, v8
	v_mul_hi_u32 v12, v7, v10
	v_mul_lo_u32 v10, v7, v10
	v_mul_hi_u32 v14, v7, v8
	v_add_co_u32_e32 v9, vcc, v9, v11
	v_addc_co_u32_e32 v11, vcc, 0, v13, vcc
	v_mul_lo_u32 v8, v7, v8
	v_add_co_u32_e32 v9, vcc, v9, v10
	v_addc_co_u32_e32 v9, vcc, v11, v12, vcc
	v_addc_co_u32_e32 v10, vcc, 0, v14, vcc
	v_add_co_u32_e32 v8, vcc, v9, v8
	v_addc_co_u32_e32 v9, vcc, 0, v10, vcc
	v_add_co_u32_e32 v4, vcc, v4, v8
	v_addc_co_u32_e32 v7, vcc, v7, v9, vcc
	v_mul_lo_u32 v8, s0, v7
	v_mul_hi_u32 v9, s0, v4
	v_mul_lo_u32 v10, s1, v4
	v_mul_lo_u32 v11, s0, v4
	v_add_u32_e32 v8, v9, v8
	v_add_u32_e32 v8, v8, v10
	v_mul_lo_u32 v12, v4, v8
	v_mul_hi_u32 v13, v4, v11
	v_mul_hi_u32 v14, v4, v8
	;; [unrolled: 1-line block ×3, first 2 shown]
	v_mul_lo_u32 v11, v7, v11
	v_mul_hi_u32 v9, v7, v8
	v_add_co_u32_e32 v12, vcc, v13, v12
	v_addc_co_u32_e32 v13, vcc, 0, v14, vcc
	v_mul_lo_u32 v8, v7, v8
	v_add_co_u32_e32 v11, vcc, v12, v11
	v_addc_co_u32_e32 v10, vcc, v13, v10, vcc
	v_addc_co_u32_e32 v9, vcc, 0, v9, vcc
	v_add_co_u32_e32 v8, vcc, v10, v8
	v_addc_co_u32_e32 v9, vcc, 0, v9, vcc
	v_add_co_u32_e32 v4, vcc, v4, v8
	v_addc_co_u32_e32 v9, vcc, v7, v9, vcc
	v_mad_u64_u32 v[7:8], s[0:1], v5, v9, 0
	v_mul_hi_u32 v10, v5, v4
	v_add_co_u32_e32 v11, vcc, v10, v7
	v_addc_co_u32_e32 v12, vcc, 0, v8, vcc
	v_mad_u64_u32 v[7:8], s[0:1], v6, v4, 0
	v_mad_u64_u32 v[9:10], s[0:1], v6, v9, 0
	v_add_co_u32_e32 v4, vcc, v11, v7
	v_addc_co_u32_e32 v4, vcc, v12, v8, vcc
	v_addc_co_u32_e32 v7, vcc, 0, v10, vcc
	v_add_co_u32_e32 v4, vcc, v4, v9
	v_addc_co_u32_e32 v9, vcc, 0, v7, vcc
	v_mul_lo_u32 v10, s19, v4
	v_mul_lo_u32 v11, s18, v9
	v_mad_u64_u32 v[7:8], s[0:1], s18, v4, 0
	v_add3_u32 v8, v8, v11, v10
	v_sub_u32_e32 v10, v6, v8
	v_mov_b32_e32 v11, s19
	v_sub_co_u32_e32 v7, vcc, v5, v7
	v_subb_co_u32_e64 v10, s[0:1], v10, v11, vcc
	v_subrev_co_u32_e64 v11, s[0:1], s18, v7
	v_subbrev_co_u32_e64 v10, s[0:1], 0, v10, s[0:1]
	v_cmp_le_u32_e64 s[0:1], s19, v10
	v_cndmask_b32_e64 v12, 0, -1, s[0:1]
	v_cmp_le_u32_e64 s[0:1], s18, v11
	v_cndmask_b32_e64 v11, 0, -1, s[0:1]
	v_cmp_eq_u32_e64 s[0:1], s19, v10
	v_cndmask_b32_e64 v10, v12, v11, s[0:1]
	v_add_co_u32_e64 v11, s[0:1], 2, v4
	v_addc_co_u32_e64 v12, s[0:1], 0, v9, s[0:1]
	v_add_co_u32_e64 v13, s[0:1], 1, v4
	v_addc_co_u32_e64 v14, s[0:1], 0, v9, s[0:1]
	v_subb_co_u32_e32 v8, vcc, v6, v8, vcc
	v_cmp_ne_u32_e64 s[0:1], 0, v10
	v_cmp_le_u32_e32 vcc, s19, v8
	v_cndmask_b32_e64 v10, v14, v12, s[0:1]
	v_cndmask_b32_e64 v12, 0, -1, vcc
	v_cmp_le_u32_e32 vcc, s18, v7
	v_cndmask_b32_e64 v7, 0, -1, vcc
	v_cmp_eq_u32_e32 vcc, s19, v8
	v_cndmask_b32_e32 v7, v12, v7, vcc
	v_cmp_ne_u32_e32 vcc, 0, v7
	v_cndmask_b32_e64 v7, v13, v11, s[0:1]
	v_cndmask_b32_e32 v8, v9, v10, vcc
	v_cndmask_b32_e32 v7, v4, v7, vcc
.LBB0_4:                                ;   in Loop: Header=BB0_2 Depth=1
	s_andn2_saveexec_b64 s[0:1], s[20:21]
	s_cbranch_execz .LBB0_6
; %bb.5:                                ;   in Loop: Header=BB0_2 Depth=1
	v_cvt_f32_u32_e32 v4, s18
	s_sub_i32 s20, 0, s18
	v_rcp_iflag_f32_e32 v4, v4
	v_mul_f32_e32 v4, 0x4f7ffffe, v4
	v_cvt_u32_f32_e32 v4, v4
	v_mul_lo_u32 v7, s20, v4
	v_mul_hi_u32 v7, v4, v7
	v_add_u32_e32 v4, v4, v7
	v_mul_hi_u32 v4, v5, v4
	v_mul_lo_u32 v7, v4, s18
	v_add_u32_e32 v8, 1, v4
	v_sub_u32_e32 v7, v5, v7
	v_subrev_u32_e32 v9, s18, v7
	v_cmp_le_u32_e32 vcc, s18, v7
	v_cndmask_b32_e32 v7, v7, v9, vcc
	v_cndmask_b32_e32 v4, v4, v8, vcc
	v_add_u32_e32 v8, 1, v4
	v_cmp_le_u32_e32 vcc, s18, v7
	v_cndmask_b32_e32 v7, v4, v8, vcc
	v_mov_b32_e32 v8, v3
.LBB0_6:                                ;   in Loop: Header=BB0_2 Depth=1
	s_or_b64 exec, exec, s[0:1]
	v_mul_lo_u32 v4, v8, s18
	v_mul_lo_u32 v11, v7, s19
	v_mad_u64_u32 v[9:10], s[0:1], v7, s18, 0
	s_load_dwordx2 s[0:1], s[6:7], 0x0
	s_add_u32 s16, s16, 1
	v_add3_u32 v4, v10, v11, v4
	v_sub_co_u32_e32 v5, vcc, v5, v9
	v_subb_co_u32_e32 v4, vcc, v6, v4, vcc
	s_waitcnt lgkmcnt(0)
	v_mul_lo_u32 v4, s0, v4
	v_mul_lo_u32 v6, s1, v5
	v_mad_u64_u32 v[1:2], s[0:1], s0, v5, v[1:2]
	s_addc_u32 s17, s17, 0
	s_add_u32 s6, s6, 8
	v_add3_u32 v2, v6, v2, v4
	v_mov_b32_e32 v4, s10
	v_mov_b32_e32 v5, s11
	s_addc_u32 s7, s7, 0
	v_cmp_ge_u64_e32 vcc, s[16:17], v[4:5]
	s_add_u32 s14, s14, 8
	s_addc_u32 s15, s15, 0
	s_cbranch_vccnz .LBB0_9
; %bb.7:                                ;   in Loop: Header=BB0_2 Depth=1
	v_mov_b32_e32 v5, v7
	v_mov_b32_e32 v6, v8
	s_branch .LBB0_2
.LBB0_8:
	v_mov_b32_e32 v8, v6
	v_mov_b32_e32 v7, v5
.LBB0_9:
	s_lshl_b64 s[0:1], s[10:11], 3
	s_add_u32 s0, s12, s0
	s_addc_u32 s1, s13, s1
	s_load_dwordx2 s[6:7], s[0:1], 0x0
	s_load_dwordx2 s[10:11], s[4:5], 0x20
	s_waitcnt lgkmcnt(0)
	v_mad_u64_u32 v[1:2], s[0:1], s6, v7, v[1:2]
	s_mov_b32 s0, 0x4924925
	v_mul_lo_u32 v3, s6, v8
	v_mul_lo_u32 v4, s7, v7
	v_mul_hi_u32 v5, v0, s0
	v_cmp_gt_u64_e32 vcc, s[10:11], v[7:8]
	v_cmp_le_u64_e64 s[0:1], s[10:11], v[7:8]
	v_add3_u32 v2, v4, v2, v3
	v_mul_u32_u24_e32 v3, 56, v5
	v_sub_u32_e32 v80, v0, v3
	v_add_u32_e32 v84, 56, v80
	s_and_saveexec_b64 s[4:5], s[0:1]
	s_xor_b64 s[0:1], exec, s[4:5]
; %bb.10:
	v_add_u32_e32 v84, 56, v80
; %bb.11:
	s_or_saveexec_b64 s[4:5], s[0:1]
	v_lshlrev_b64 v[82:83], 4, v[1:2]
	v_lshl_add_u32 v86, v80, 4, 0
	s_xor_b64 exec, exec, s[4:5]
	s_cbranch_execz .LBB0_13
; %bb.12:
	v_mov_b32_e32 v81, 0
	v_mov_b32_e32 v0, s3
	v_add_co_u32_e64 v26, s[0:1], s2, v82
	v_addc_co_u32_e64 v27, s[0:1], v0, v83, s[0:1]
	v_lshlrev_b64 v[0:1], 4, v[80:81]
	v_add_co_u32_e64 v24, s[0:1], v26, v0
	v_addc_co_u32_e64 v25, s[0:1], v27, v1, s[0:1]
	s_movk_i32 s0, 0x1000
	v_add_co_u32_e64 v40, s[0:1], s0, v24
	global_load_dwordx4 v[0:3], v[24:25], off
	global_load_dwordx4 v[4:7], v[24:25], off offset:896
	global_load_dwordx4 v[8:11], v[24:25], off offset:1792
	;; [unrolled: 1-line block ×3, first 2 shown]
	v_addc_co_u32_e64 v41, s[0:1], 0, v25, s[0:1]
	global_load_dwordx4 v[16:19], v[24:25], off offset:3584
	global_load_dwordx4 v[20:23], v[40:41], off offset:384
	v_or_b32_e32 v24, 0x1c0, v80
	v_mov_b32_e32 v25, v81
	v_lshlrev_b64 v[24:25], 4, v[24:25]
	v_add_co_u32_e64 v42, s[0:1], v26, v24
	v_addc_co_u32_e64 v43, s[0:1], v27, v25, s[0:1]
	global_load_dwordx4 v[24:27], v[40:41], off offset:1280
	global_load_dwordx4 v[28:31], v[40:41], off offset:2176
	global_load_dwordx4 v[32:35], v[42:43], off
	global_load_dwordx4 v[36:39], v[40:41], off offset:3968
	s_waitcnt vmcnt(9)
	ds_write_b128 v86, v[0:3]
	s_waitcnt vmcnt(8)
	ds_write_b128 v86, v[4:7] offset:896
	s_waitcnt vmcnt(7)
	ds_write_b128 v86, v[8:11] offset:1792
	;; [unrolled: 2-line block ×9, first 2 shown]
.LBB0_13:
	s_or_b64 exec, exec, s[4:5]
	s_waitcnt lgkmcnt(0)
	; wave barrier
	s_waitcnt lgkmcnt(0)
	ds_read_b128 v[0:3], v86 offset:4480
	ds_read_b128 v[4:7], v86
	ds_read_b128 v[8:11], v86 offset:896
	ds_read_b128 v[12:15], v86 offset:5376
	;; [unrolled: 1-line block ×4, first 2 shown]
	s_waitcnt lgkmcnt(4)
	v_add_f64 v[56:57], v[4:5], -v[0:1]
	v_add_f64 v[58:59], v[6:7], -v[2:3]
	ds_read_b128 v[24:27], v86 offset:3136
	ds_read_b128 v[28:31], v86 offset:7616
	s_mov_b32 s0, 0x667f3bcd
	s_waitcnt lgkmcnt(2)
	v_add_f64 v[60:61], v[20:21], -v[16:17]
	v_add_f64 v[62:63], v[22:23], -v[18:19]
	ds_read_b128 v[0:3], v86 offset:5600
	ds_read_b128 v[16:19], v86 offset:1120
	;; [unrolled: 1-line block ×6, first 2 shown]
	s_waitcnt lgkmcnt(4)
	v_add_f64 v[0:1], v[16:17], -v[0:1]
	v_add_f64 v[2:3], v[18:19], -v[2:3]
	ds_read_b128 v[48:51], v86 offset:4256
	ds_read_b128 v[52:55], v86 offset:8736
	s_waitcnt lgkmcnt(3)
	v_add_f64 v[38:39], v[42:43], -v[38:39]
	v_add_f64 v[36:37], v[40:41], -v[36:37]
	v_add_f64 v[68:69], v[58:59], v[60:61]
	v_add_f64 v[64:65], v[56:57], -v[62:63]
	s_mov_b32 s1, 0xbfe6a09e
	s_mov_b32 s5, 0x3fe6a09e
	;; [unrolled: 1-line block ×3, first 2 shown]
	v_fma_f64 v[4:5], v[4:5], 2.0, -v[56:57]
	v_add_f64 v[66:67], v[0:1], -v[38:39]
	v_add_f64 v[70:71], v[2:3], v[36:37]
	v_fma_f64 v[76:77], v[58:59], 2.0, -v[68:69]
	v_fma_f64 v[72:73], v[56:57], 2.0, -v[64:65]
	;; [unrolled: 1-line block ×8, first 2 shown]
	v_fma_f64 v[60:61], v[66:67], s[4:5], v[64:65]
	v_fma_f64 v[62:63], v[70:71], s[4:5], v[68:69]
	v_fma_f64 v[18:19], v[18:19], 2.0, -v[2:3]
	v_fma_f64 v[40:41], v[40:41], 2.0, -v[36:37]
	;; [unrolled: 1-line block ×3, first 2 shown]
	v_add_f64 v[12:13], v[8:9], -v[12:13]
	v_fma_f64 v[56:57], v[74:75], s[0:1], v[72:73]
	v_fma_f64 v[58:59], v[78:79], s[0:1], v[76:77]
	v_add_f64 v[14:15], v[10:11], -v[14:15]
	v_add_f64 v[28:29], v[24:25], -v[28:29]
	;; [unrolled: 1-line block ×3, first 2 shown]
	s_waitcnt lgkmcnt(2)
	v_add_f64 v[44:45], v[32:33], -v[44:45]
	v_add_f64 v[46:47], v[34:35], -v[46:47]
	s_waitcnt lgkmcnt(0)
	v_add_f64 v[54:55], v[50:51], -v[54:55]
	v_add_f64 v[52:53], v[48:49], -v[52:53]
	v_fma_f64 v[36:37], v[78:79], s[0:1], v[56:57]
	v_fma_f64 v[38:39], v[74:75], s[4:5], v[58:59]
	;; [unrolled: 1-line block ×4, first 2 shown]
	v_fma_f64 v[56:57], v[8:9], 2.0, -v[12:13]
	v_fma_f64 v[58:59], v[10:11], 2.0, -v[14:15]
	v_add_f64 v[60:61], v[12:13], -v[30:31]
	v_add_f64 v[62:63], v[14:15], v[28:29]
	v_add_f64 v[8:9], v[44:45], -v[54:55]
	v_add_f64 v[10:11], v[46:47], v[52:53]
	v_add_f64 v[20:21], v[4:5], -v[20:21]
	v_add_f64 v[22:23], v[6:7], -v[22:23]
	;; [unrolled: 1-line block ×4, first 2 shown]
	v_fma_f64 v[74:75], v[12:13], 2.0, -v[60:61]
	v_fma_f64 v[78:79], v[14:15], 2.0, -v[62:63]
	;; [unrolled: 1-line block ×12, first 2 shown]
	v_fma_f64 v[28:29], v[12:13], s[0:1], v[74:75]
	v_fma_f64 v[30:31], v[14:15], s[0:1], v[78:79]
	;; [unrolled: 1-line block ×4, first 2 shown]
	v_add_f64 v[40:41], v[87:88], -v[4:5]
	v_add_f64 v[42:43], v[89:90], -v[6:7]
	v_fma_f64 v[44:45], v[48:49], 2.0, -v[52:53]
	v_fma_f64 v[46:47], v[50:51], 2.0, -v[54:55]
	v_fma_f64 v[4:5], v[14:15], s[0:1], v[28:29]
	v_fma_f64 v[6:7], v[12:13], s[4:5], v[30:31]
	;; [unrolled: 1-line block ×4, first 2 shown]
	v_fma_f64 v[8:9], v[87:88], 2.0, -v[40:41]
	v_fma_f64 v[10:11], v[89:90], 2.0, -v[42:43]
	v_add_f64 v[87:88], v[56:57], -v[24:25]
	v_add_f64 v[89:90], v[58:59], -v[26:27]
	;; [unrolled: 1-line block ×5, first 2 shown]
	v_add_f64 v[46:47], v[22:23], v[66:67]
	v_fma_f64 v[12:13], v[72:73], 2.0, -v[36:37]
	v_fma_f64 v[14:15], v[76:77], 2.0, -v[38:39]
	;; [unrolled: 1-line block ×6, first 2 shown]
	v_add_f64 v[32:33], v[87:88], -v[32:33]
	v_add_f64 v[34:35], v[89:90], v[34:35]
	s_movk_i32 s0, 0x70
	v_mad_u32_u24 v66, v80, s0, v86
	s_waitcnt lgkmcnt(0)
	; wave barrier
	v_add_f64 v[24:25], v[56:57], -v[16:17]
	v_add_f64 v[26:27], v[58:59], -v[18:19]
	ds_write_b128 v66, v[8:11]
	ds_write_b128 v66, v[12:15] offset:16
	v_fma_f64 v[48:49], v[20:21], 2.0, -v[44:45]
	v_fma_f64 v[50:51], v[22:23], 2.0, -v[46:47]
	;; [unrolled: 1-line block ×12, first 2 shown]
	v_cmp_gt_u32_e64 s[0:1], 14, v80
	ds_write_b128 v66, v[48:51] offset:32
	ds_write_b128 v66, v[52:55] offset:48
	;; [unrolled: 1-line block ×6, first 2 shown]
	s_and_saveexec_b64 s[4:5], s[0:1]
	s_cbranch_execz .LBB0_15
; %bb.14:
	v_lshl_add_u32 v36, v84, 7, 0
	ds_write_b128 v36, v[8:11]
	ds_write_b128 v36, v[12:15] offset:16
	ds_write_b128 v36, v[16:19] offset:32
	;; [unrolled: 1-line block ×7, first 2 shown]
.LBB0_15:
	s_or_b64 exec, exec, s[4:5]
	s_waitcnt lgkmcnt(0)
	; wave barrier
	s_waitcnt lgkmcnt(0)
	ds_read_b128 v[28:31], v86
	ds_read_b128 v[48:51], v86 offset:1280
	ds_read_b128 v[44:47], v86 offset:2560
	;; [unrolled: 1-line block ×6, first 2 shown]
	v_cmp_gt_u32_e64 s[0:1], 24, v80
	v_lshl_add_u32 v87, v84, 4, 0
	s_and_saveexec_b64 s[4:5], s[0:1]
	s_cbranch_execz .LBB0_17
; %bb.16:
	ds_read_b128 v[0:3], v87
	ds_read_b128 v[8:11], v86 offset:2176
	ds_read_b128 v[12:15], v86 offset:3456
	;; [unrolled: 1-line block ×6, first 2 shown]
.LBB0_17:
	s_or_b64 exec, exec, s[4:5]
	v_and_b32_e32 v81, 7, v80
	v_mul_u32_u24_e32 v56, 6, v81
	v_lshlrev_b32_e32 v85, 4, v56
	global_load_dwordx4 v[60:63], v85, s[8:9]
	global_load_dwordx4 v[64:67], v85, s[8:9] offset:16
	global_load_dwordx4 v[56:59], v85, s[8:9] offset:32
	;; [unrolled: 1-line block ×5, first 2 shown]
	s_mov_b32 s12, 0x37e14327
	s_mov_b32 s6, 0x36b3c0b5
	;; [unrolled: 1-line block ×20, first 2 shown]
	v_lshrrev_b32_e32 v85, 3, v80
	v_mul_u32_u24_e32 v85, 56, v85
	v_or_b32_e32 v85, v85, v81
	v_lshl_add_u32 v85, v85, 4, 0
	s_waitcnt lgkmcnt(0)
	; wave barrier
	s_waitcnt vmcnt(5) lgkmcnt(0)
	v_mul_f64 v[88:89], v[50:51], v[62:63]
	v_mul_f64 v[90:91], v[48:49], v[62:63]
	s_waitcnt vmcnt(4)
	v_mul_f64 v[92:93], v[46:47], v[66:67]
	v_mul_f64 v[94:95], v[44:45], v[66:67]
	s_waitcnt vmcnt(2)
	;; [unrolled: 3-line block ×3, first 2 shown]
	v_mul_f64 v[104:105], v[42:43], v[78:79]
	v_mul_f64 v[106:107], v[40:41], v[78:79]
	;; [unrolled: 1-line block ×4, first 2 shown]
	s_waitcnt vmcnt(0)
	v_mul_f64 v[108:109], v[34:35], v[74:75]
	v_mul_f64 v[110:111], v[32:33], v[74:75]
	v_fma_f64 v[48:49], v[48:49], v[60:61], -v[88:89]
	v_fma_f64 v[50:51], v[50:51], v[60:61], v[90:91]
	v_fma_f64 v[44:45], v[44:45], v[64:65], -v[92:93]
	v_fma_f64 v[46:47], v[46:47], v[64:65], v[94:95]
	v_fma_f64 v[52:53], v[52:53], v[68:69], -v[100:101]
	v_fma_f64 v[54:55], v[54:55], v[68:69], v[102:103]
	v_fma_f64 v[40:41], v[40:41], v[76:77], -v[104:105]
	v_fma_f64 v[42:43], v[42:43], v[76:77], v[106:107]
	v_fma_f64 v[36:37], v[36:37], v[56:57], -v[96:97]
	v_fma_f64 v[38:39], v[38:39], v[56:57], v[98:99]
	v_fma_f64 v[32:33], v[32:33], v[72:73], -v[108:109]
	v_fma_f64 v[34:35], v[34:35], v[72:73], v[110:111]
	v_add_f64 v[88:89], v[48:49], v[52:53]
	v_add_f64 v[90:91], v[50:51], v[54:55]
	v_add_f64 v[48:49], v[48:49], -v[52:53]
	v_add_f64 v[50:51], v[50:51], -v[54:55]
	v_add_f64 v[52:53], v[44:45], v[40:41]
	v_add_f64 v[54:55], v[46:47], v[42:43]
	v_add_f64 v[40:41], v[44:45], -v[40:41]
	v_add_f64 v[42:43], v[46:47], -v[42:43]
	v_add_f64 v[44:45], v[36:37], v[32:33]
	v_add_f64 v[46:47], v[38:39], v[34:35]
	v_add_f64 v[32:33], v[32:33], -v[36:37]
	v_add_f64 v[34:35], v[34:35], -v[38:39]
	v_add_f64 v[36:37], v[52:53], v[88:89]
	v_add_f64 v[38:39], v[54:55], v[90:91]
	v_add_f64 v[92:93], v[52:53], -v[88:89]
	v_add_f64 v[94:95], v[54:55], -v[90:91]
	v_add_f64 v[88:89], v[88:89], -v[44:45]
	v_add_f64 v[90:91], v[90:91], -v[46:47]
	;; [unrolled: 1-line block ×4, first 2 shown]
	v_add_f64 v[96:97], v[32:33], v[40:41]
	v_add_f64 v[98:99], v[34:35], v[42:43]
	v_add_f64 v[100:101], v[32:33], -v[40:41]
	v_add_f64 v[102:103], v[34:35], -v[42:43]
	v_add_f64 v[36:37], v[44:45], v[36:37]
	v_add_f64 v[38:39], v[46:47], v[38:39]
	v_add_f64 v[40:41], v[40:41], -v[48:49]
	v_add_f64 v[42:43], v[42:43], -v[50:51]
	;; [unrolled: 1-line block ×4, first 2 shown]
	v_add_f64 v[44:45], v[96:97], v[48:49]
	v_add_f64 v[46:47], v[98:99], v[50:51]
	v_mul_f64 v[48:49], v[88:89], s[12:13]
	v_mul_f64 v[50:51], v[90:91], s[12:13]
	;; [unrolled: 1-line block ×6, first 2 shown]
	v_add_f64 v[28:29], v[28:29], v[36:37]
	v_add_f64 v[30:31], v[30:31], v[38:39]
	v_mul_f64 v[100:101], v[40:41], s[4:5]
	v_mul_f64 v[102:103], v[42:43], s[4:5]
	v_fma_f64 v[52:53], v[52:53], s[6:7], v[48:49]
	v_fma_f64 v[54:55], v[54:55], s[6:7], v[50:51]
	v_fma_f64 v[88:89], v[92:93], s[10:11], -v[88:89]
	v_fma_f64 v[90:91], v[94:95], s[10:11], -v[90:91]
	;; [unrolled: 1-line block ×4, first 2 shown]
	v_fma_f64 v[92:93], v[32:33], s[24:25], v[96:97]
	v_fma_f64 v[94:95], v[34:35], s[24:25], v[98:99]
	;; [unrolled: 1-line block ×4, first 2 shown]
	v_fma_f64 v[32:33], v[32:33], s[22:23], -v[100:101]
	v_fma_f64 v[34:35], v[34:35], s[22:23], -v[102:103]
	;; [unrolled: 1-line block ×4, first 2 shown]
	v_fma_f64 v[92:93], v[44:45], s[20:21], v[92:93]
	v_fma_f64 v[94:95], v[46:47], s[20:21], v[94:95]
	v_add_f64 v[52:53], v[52:53], v[36:37]
	v_add_f64 v[54:55], v[54:55], v[38:39]
	v_fma_f64 v[100:101], v[44:45], s[20:21], v[32:33]
	v_fma_f64 v[102:103], v[46:47], s[20:21], v[34:35]
	v_add_f64 v[48:49], v[48:49], v[36:37]
	v_add_f64 v[50:51], v[50:51], v[38:39]
	;; [unrolled: 4-line block ×3, first 2 shown]
	v_add_f64 v[32:33], v[94:95], v[52:53]
	v_add_f64 v[34:35], v[54:55], -v[92:93]
	v_add_f64 v[36:37], v[102:103], v[48:49]
	v_add_f64 v[38:39], v[50:51], -v[100:101]
	v_add_f64 v[48:49], v[48:49], -v[102:103]
	v_add_f64 v[50:51], v[100:101], v[50:51]
	v_add_f64 v[40:41], v[44:45], -v[98:99]
	v_add_f64 v[42:43], v[96:97], v[46:47]
	v_add_f64 v[44:45], v[98:99], v[44:45]
	v_add_f64 v[46:47], v[46:47], -v[96:97]
	v_add_f64 v[52:53], v[52:53], -v[94:95]
	v_add_f64 v[54:55], v[92:93], v[54:55]
	ds_write_b128 v85, v[28:31]
	ds_write_b128 v85, v[32:35] offset:128
	ds_write_b128 v85, v[36:39] offset:256
	;; [unrolled: 1-line block ×6, first 2 shown]
	s_and_saveexec_b64 s[26:27], s[0:1]
	s_cbranch_execz .LBB0_19
; %bb.18:
	v_mul_f64 v[32:33], v[14:15], v[66:67]
	v_mul_f64 v[34:35], v[26:27], v[78:79]
	;; [unrolled: 1-line block ×8, first 2 shown]
	v_fma_f64 v[12:13], v[12:13], v[64:65], -v[32:33]
	v_fma_f64 v[32:33], v[24:25], v[76:77], -v[34:35]
	v_mul_f64 v[24:25], v[24:25], v[78:79]
	v_mul_f64 v[34:35], v[8:9], v[62:63]
	v_fma_f64 v[28:29], v[20:21], v[72:73], -v[28:29]
	v_fma_f64 v[30:31], v[16:17], v[56:57], -v[30:31]
	v_mul_f64 v[16:17], v[16:17], v[58:59]
	v_mul_f64 v[20:21], v[20:21], v[74:75]
	v_fma_f64 v[14:15], v[14:15], v[64:65], v[36:37]
	v_fma_f64 v[6:7], v[6:7], v[68:69], v[38:39]
	;; [unrolled: 1-line block ×4, first 2 shown]
	v_add_f64 v[34:35], v[12:13], -v[32:33]
	v_add_f64 v[26:27], v[28:29], -v[30:31]
	v_fma_f64 v[8:9], v[8:9], v[60:61], -v[40:41]
	v_fma_f64 v[4:5], v[4:5], v[68:69], -v[42:43]
	v_fma_f64 v[16:17], v[18:19], v[56:57], v[16:17]
	v_fma_f64 v[18:19], v[22:23], v[72:73], v[20:21]
	v_add_f64 v[20:21], v[14:15], v[24:25]
	v_add_f64 v[22:23], v[10:11], v[6:7]
	;; [unrolled: 1-line block ×3, first 2 shown]
	v_add_f64 v[36:37], v[26:27], -v[34:35]
	v_add_f64 v[44:45], v[26:27], v[34:35]
	v_add_f64 v[38:39], v[8:9], -v[4:5]
	v_add_f64 v[4:5], v[8:9], v[4:5]
	v_add_f64 v[40:41], v[16:17], v[18:19]
	;; [unrolled: 1-line block ×4, first 2 shown]
	v_add_f64 v[16:17], v[18:19], -v[16:17]
	v_mul_f64 v[36:37], v[36:37], s[18:19]
	v_add_f64 v[14:15], v[14:15], -v[24:25]
	v_add_f64 v[26:27], v[38:39], -v[26:27]
	v_add_f64 v[8:9], v[44:45], v[38:39]
	v_add_f64 v[46:47], v[22:23], -v[40:41]
	v_add_f64 v[30:31], v[12:13], v[4:5]
	v_add_f64 v[42:43], v[40:41], v[42:43]
	v_add_f64 v[40:41], v[40:41], -v[20:21]
	v_add_f64 v[6:7], v[10:11], -v[6:7]
	;; [unrolled: 1-line block ×3, first 2 shown]
	v_fma_f64 v[32:33], v[26:27], s[24:25], v[36:37]
	v_add_f64 v[38:39], v[16:17], v[14:15]
	v_mul_f64 v[44:45], v[46:47], s[12:13]
	v_add_f64 v[30:31], v[28:29], v[30:31]
	v_add_f64 v[2:3], v[2:3], v[42:43]
	v_add_f64 v[46:47], v[16:17], -v[14:15]
	v_add_f64 v[14:15], v[14:15], -v[6:7]
	;; [unrolled: 1-line block ×3, first 2 shown]
	v_fma_f64 v[24:25], v[8:9], s[20:21], v[32:33]
	v_add_f64 v[16:17], v[6:7], -v[16:17]
	v_fma_f64 v[18:19], v[40:41], s[6:7], v[44:45]
	v_mul_f64 v[40:41], v[40:41], s[6:7]
	v_fma_f64 v[32:33], v[42:43], s[16:17], v[2:3]
	v_add_f64 v[42:43], v[4:5], -v[28:29]
	v_add_f64 v[28:29], v[28:29], -v[12:13]
	v_add_f64 v[0:1], v[0:1], v[30:31]
	v_add_f64 v[4:5], v[12:13], -v[4:5]
	v_mul_f64 v[12:13], v[14:15], s[4:5]
	v_add_f64 v[34:35], v[18:19], v[32:33]
	v_mul_f64 v[18:19], v[42:43], s[12:13]
	v_mul_f64 v[42:43], v[46:47], s[18:19]
	;; [unrolled: 1-line block ×4, first 2 shown]
	v_fma_f64 v[10:11], v[10:11], s[4:5], -v[36:37]
	v_fma_f64 v[12:13], v[16:17], s[22:23], -v[12:13]
	v_fma_f64 v[22:23], v[28:29], s[6:7], v[18:19]
	v_fma_f64 v[28:29], v[30:31], s[16:17], v[0:1]
	v_add_f64 v[30:31], v[38:39], v[6:7]
	v_fma_f64 v[26:27], v[26:27], s[22:23], -v[46:47]
	v_fma_f64 v[38:39], v[20:21], s[14:15], -v[44:45]
	v_fma_f64 v[20:21], v[20:21], s[10:11], -v[40:41]
	v_fma_f64 v[6:7], v[16:17], s[24:25], v[42:43]
	v_fma_f64 v[18:19], v[4:5], s[14:15], -v[18:19]
	v_add_f64 v[36:37], v[22:23], v[28:29]
	v_fma_f64 v[22:23], v[8:9], s[20:21], v[26:27]
	v_add_f64 v[16:17], v[38:39], v[32:33]
	v_add_f64 v[20:21], v[20:21], v[32:33]
	v_fma_f64 v[26:27], v[14:15], s[4:5], -v[42:43]
	v_fma_f64 v[32:33], v[4:5], s[10:11], -v[48:49]
	v_fma_f64 v[40:41], v[30:31], s[20:21], v[6:7]
	v_fma_f64 v[8:9], v[8:9], s[20:21], v[10:11]
	v_add_f64 v[38:39], v[18:19], v[28:29]
	v_fma_f64 v[42:43], v[30:31], s[20:21], v[12:13]
	v_add_f64 v[6:7], v[24:25], v[34:35]
	v_add_f64 v[10:11], v[22:23], v[16:17]
	v_fma_f64 v[12:13], v[30:31], s[20:21], v[26:27]
	v_add_f64 v[28:29], v[32:33], v[28:29]
	v_add_f64 v[26:27], v[34:35], -v[24:25]
	v_add_f64 v[14:15], v[20:21], -v[8:9]
	v_add_f64 v[18:19], v[8:9], v[20:21]
	v_add_f64 v[24:25], v[40:41], v[36:37]
	v_lshrrev_b32_e32 v8, 3, v84
	v_add_f64 v[22:23], v[16:17], -v[22:23]
	v_add_f64 v[20:21], v[42:43], v[38:39]
	v_mul_lo_u32 v30, v8, 56
	v_add_f64 v[16:17], v[28:29], -v[12:13]
	v_add_f64 v[12:13], v[12:13], v[28:29]
	v_add_f64 v[8:9], v[38:39], -v[42:43]
	v_add_f64 v[4:5], v[36:37], -v[40:41]
	v_or_b32_e32 v28, v30, v81
	v_lshl_add_u32 v28, v28, 4, 0
	ds_write_b128 v28, v[0:3]
	ds_write_b128 v28, v[24:27] offset:128
	ds_write_b128 v28, v[20:23] offset:256
	ds_write_b128 v28, v[16:19] offset:384
	ds_write_b128 v28, v[12:15] offset:512
	ds_write_b128 v28, v[8:11] offset:640
	ds_write_b128 v28, v[4:7] offset:768
.LBB0_19:
	s_or_b64 exec, exec, s[26:27]
	v_lshlrev_b32_e32 v0, 2, v80
	v_mov_b32_e32 v1, 0
	v_lshlrev_b64 v[2:3], 4, v[0:1]
	v_mov_b32_e32 v0, s9
	v_add_co_u32_e64 v18, s[0:1], s8, v2
	v_addc_co_u32_e64 v19, s[0:1], v0, v3, s[0:1]
	s_waitcnt lgkmcnt(0)
	; wave barrier
	s_waitcnt lgkmcnt(0)
	global_load_dwordx4 v[2:5], v[18:19], off offset:768
	global_load_dwordx4 v[6:9], v[18:19], off offset:784
	;; [unrolled: 1-line block ×4, first 2 shown]
	ds_read_b128 v[18:21], v86
	ds_read_b128 v[22:25], v87
	ds_read_b128 v[26:29], v86 offset:1792
	ds_read_b128 v[30:33], v86 offset:2688
	;; [unrolled: 1-line block ×8, first 2 shown]
	s_mov_b32 s6, 0x134454ff
	s_mov_b32 s7, 0x3fee6f0e
	;; [unrolled: 1-line block ×10, first 2 shown]
	v_mov_b32_e32 v81, v1
	s_waitcnt lgkmcnt(0)
	; wave barrier
	s_waitcnt lgkmcnt(0)
	v_mov_b32_e32 v85, v1
	s_waitcnt vmcnt(3)
	v_mul_f64 v[58:59], v[28:29], v[4:5]
	v_mul_f64 v[60:61], v[26:27], v[4:5]
	s_waitcnt vmcnt(2)
	v_mul_f64 v[62:63], v[36:37], v[8:9]
	v_mul_f64 v[64:65], v[34:35], v[8:9]
	;; [unrolled: 3-line block ×4, first 2 shown]
	v_mul_f64 v[74:75], v[32:33], v[4:5]
	v_mul_f64 v[4:5], v[30:31], v[4:5]
	;; [unrolled: 1-line block ×7, first 2 shown]
	v_fma_f64 v[26:27], v[26:27], v[2:3], -v[58:59]
	v_fma_f64 v[28:29], v[28:29], v[2:3], v[60:61]
	v_fma_f64 v[34:35], v[34:35], v[6:7], -v[62:63]
	v_fma_f64 v[36:37], v[36:37], v[6:7], v[64:65]
	;; [unrolled: 2-line block ×4, first 2 shown]
	v_mul_f64 v[8:9], v[38:39], v[8:9]
	v_fma_f64 v[30:31], v[30:31], v[2:3], -v[74:75]
	v_fma_f64 v[32:33], v[32:33], v[2:3], v[4:5]
	v_fma_f64 v[38:39], v[38:39], v[6:7], -v[76:77]
	v_fma_f64 v[46:47], v[46:47], v[10:11], -v[78:79]
	v_fma_f64 v[48:49], v[48:49], v[10:11], v[12:13]
	v_fma_f64 v[54:55], v[54:55], v[14:15], -v[88:89]
	v_fma_f64 v[56:57], v[56:57], v[14:15], v[16:17]
	v_add_f64 v[2:3], v[18:19], v[26:27]
	v_add_f64 v[4:5], v[34:35], v[42:43]
	v_add_f64 v[10:11], v[26:27], -v[34:35]
	v_add_f64 v[12:13], v[50:51], -v[42:43]
	v_add_f64 v[14:15], v[26:27], v[50:51]
	v_add_f64 v[60:61], v[20:21], v[28:29]
	;; [unrolled: 1-line block ×4, first 2 shown]
	v_fma_f64 v[40:41], v[40:41], v[6:7], v[8:9]
	v_add_f64 v[6:7], v[28:29], -v[52:53]
	v_add_f64 v[8:9], v[36:37], -v[44:45]
	;; [unrolled: 1-line block ×7, first 2 shown]
	v_add_f64 v[76:77], v[38:39], v[46:47]
	v_add_f64 v[94:95], v[30:31], v[54:55]
	;; [unrolled: 1-line block ×3, first 2 shown]
	v_fma_f64 v[4:5], v[4:5], -0.5, v[18:19]
	v_add_f64 v[10:11], v[10:11], v[12:13]
	v_fma_f64 v[12:13], v[14:15], -0.5, v[18:19]
	v_add_f64 v[14:15], v[60:61], v[36:37]
	v_fma_f64 v[18:19], v[62:63], -0.5, v[20:21]
	v_fma_f64 v[20:21], v[70:71], -0.5, v[20:21]
	v_add_f64 v[26:27], v[26:27], -v[50:51]
	v_add_f64 v[28:29], v[36:37], -v[28:29]
	;; [unrolled: 1-line block ×3, first 2 shown]
	v_add_f64 v[74:75], v[22:23], v[30:31]
	v_add_f64 v[16:17], v[16:17], v[58:59]
	;; [unrolled: 1-line block ×3, first 2 shown]
	v_fma_f64 v[58:59], v[76:77], -0.5, v[22:23]
	v_fma_f64 v[62:63], v[94:95], -0.5, v[22:23]
	v_add_f64 v[2:3], v[2:3], v[42:43]
	v_fma_f64 v[22:23], v[6:7], s[6:7], v[4:5]
	v_fma_f64 v[4:5], v[6:7], s[12:13], v[4:5]
	;; [unrolled: 1-line block ×4, first 2 shown]
	v_add_f64 v[14:15], v[14:15], v[44:45]
	v_fma_f64 v[66:67], v[64:65], s[6:7], v[20:21]
	v_fma_f64 v[20:21], v[64:65], s[12:13], v[20:21]
	;; [unrolled: 1-line block ×3, first 2 shown]
	v_add_f64 v[28:29], v[28:29], v[72:73]
	v_fma_f64 v[18:19], v[26:27], s[6:7], v[18:19]
	v_fma_f64 v[22:23], v[8:9], s[0:1], v[22:23]
	v_fma_f64 v[8:9], v[8:9], s[10:11], v[4:5]
	v_fma_f64 v[42:43], v[6:7], s[0:1], v[42:43]
	v_fma_f64 v[12:13], v[6:7], s[10:11], v[12:13]
	v_add_f64 v[4:5], v[14:15], v[52:53]
	v_fma_f64 v[52:53], v[26:27], s[10:11], v[66:67]
	v_fma_f64 v[20:21], v[26:27], s[0:1], v[20:21]
	;; [unrolled: 1-line block ×3, first 2 shown]
	v_add_f64 v[36:37], v[74:75], v[38:39]
	v_add_f64 v[2:3], v[2:3], v[50:51]
	v_fma_f64 v[50:51], v[64:65], s[0:1], v[18:19]
	v_fma_f64 v[14:15], v[16:17], s[4:5], v[42:43]
	;; [unrolled: 1-line block ×5, first 2 shown]
	v_add_f64 v[28:29], v[40:41], v[48:49]
	v_fma_f64 v[6:7], v[10:11], s[4:5], v[22:23]
	v_fma_f64 v[10:11], v[10:11], s[4:5], v[8:9]
	v_fma_f64 v[8:9], v[34:35], s[4:5], v[44:45]
	v_add_f64 v[44:45], v[32:33], v[56:57]
	v_add_f64 v[52:53], v[24:25], v[32:33]
	v_add_f64 v[78:79], v[32:33], -v[56:57]
	v_add_f64 v[90:91], v[30:31], -v[38:39]
	v_add_f64 v[36:37], v[36:37], v[46:47]
	v_fma_f64 v[12:13], v[34:35], s[4:5], v[50:51]
	v_add_f64 v[42:43], v[38:39], -v[30:31]
	v_add_f64 v[50:51], v[46:47], -v[54:55]
	v_fma_f64 v[28:29], v[28:29], -0.5, v[24:25]
	v_add_f64 v[30:31], v[30:31], -v[54:55]
	v_add_f64 v[88:89], v[40:41], -v[48:49]
	;; [unrolled: 1-line block ×3, first 2 shown]
	v_fma_f64 v[24:25], v[44:45], -0.5, v[24:25]
	v_add_f64 v[92:93], v[54:55], -v[46:47]
	v_add_f64 v[46:47], v[52:53], v[40:41]
	v_fma_f64 v[68:69], v[78:79], s[6:7], v[58:59]
	v_add_f64 v[22:23], v[36:37], v[54:55]
	v_add_f64 v[42:43], v[42:43], v[50:51]
	v_fma_f64 v[50:51], v[30:31], s[12:13], v[28:29]
	v_add_f64 v[52:53], v[32:33], -v[40:41]
	v_add_f64 v[54:55], v[56:57], -v[48:49]
	v_fma_f64 v[34:35], v[78:79], s[12:13], v[58:59]
	v_fma_f64 v[36:37], v[88:89], s[12:13], v[62:63]
	;; [unrolled: 1-line block ×3, first 2 shown]
	v_add_f64 v[32:33], v[40:41], -v[32:33]
	v_add_f64 v[40:41], v[48:49], -v[56:57]
	v_fma_f64 v[44:45], v[88:89], s[6:7], v[62:63]
	v_fma_f64 v[28:29], v[30:31], s[6:7], v[28:29]
	;; [unrolled: 1-line block ×3, first 2 shown]
	v_add_f64 v[46:47], v[46:47], v[48:49]
	v_add_f64 v[60:61], v[90:91], v[92:93]
	v_fma_f64 v[26:27], v[88:89], s[0:1], v[68:69]
	v_fma_f64 v[48:49], v[38:39], s[10:11], v[50:51]
	v_add_f64 v[50:51], v[52:53], v[54:55]
	v_fma_f64 v[34:35], v[88:89], s[10:11], v[34:35]
	v_fma_f64 v[36:37], v[78:79], s[0:1], v[36:37]
	v_fma_f64 v[54:55], v[30:31], s[10:11], v[58:59]
	v_add_f64 v[40:41], v[32:33], v[40:41]
	v_fma_f64 v[44:45], v[78:79], s[10:11], v[44:45]
	;; [unrolled: 4-line block ×3, first 2 shown]
	v_fma_f64 v[28:29], v[50:51], s[4:5], v[48:49]
	v_fma_f64 v[30:31], v[60:61], s[4:5], v[34:35]
	v_fma_f64 v[34:35], v[42:43], s[4:5], v[36:37]
	v_fma_f64 v[36:37], v[40:41], s[4:5], v[54:55]
	v_fma_f64 v[38:39], v[42:43], s[4:5], v[44:45]
	v_fma_f64 v[32:33], v[50:51], s[4:5], v[52:53]
	v_fma_f64 v[40:41], v[40:41], s[4:5], v[58:59]
	ds_write_b128 v86, v[2:5]
	ds_write_b128 v86, v[6:9] offset:896
	ds_write_b128 v86, v[14:17] offset:1792
	;; [unrolled: 1-line block ×9, first 2 shown]
	v_lshlrev_b64 v[4:5], 4, v[80:81]
	s_movk_i32 s4, 0x1000
	v_add_co_u32_e64 v2, s[0:1], s8, v4
	v_addc_co_u32_e64 v3, s[0:1], v0, v5, s[0:1]
	v_add_co_u32_e64 v24, s[0:1], s4, v2
	v_addc_co_u32_e64 v25, s[0:1], 0, v3, s[0:1]
	v_lshlrev_b64 v[6:7], 4, v[84:85]
	s_waitcnt lgkmcnt(0)
	; wave barrier
	s_waitcnt lgkmcnt(0)
	global_load_dwordx4 v[8:11], v[24:25], off offset:256
	v_add_co_u32_e64 v1, s[0:1], s8, v6
	v_addc_co_u32_e64 v0, s[0:1], v0, v7, s[0:1]
	v_add_co_u32_e64 v26, s[0:1], s4, v1
	v_addc_co_u32_e64 v27, s[0:1], 0, v0, s[0:1]
	global_load_dwordx4 v[0:3], v[26:27], off offset:256
	global_load_dwordx4 v[12:15], v[24:25], off offset:2048
	;; [unrolled: 1-line block ×4, first 2 shown]
	ds_read_b128 v[24:27], v86 offset:4480
	ds_read_b128 v[28:31], v86
	ds_read_b128 v[32:35], v87
	ds_read_b128 v[36:39], v86 offset:5376
	ds_read_b128 v[40:43], v86 offset:6272
	;; [unrolled: 1-line block ×7, first 2 shown]
	s_waitcnt lgkmcnt(0)
	; wave barrier
	s_waitcnt lgkmcnt(0)
	s_add_u32 s6, s8, 0x2280
	s_addc_u32 s7, s9, 0
	v_cmp_ne_u32_e64 s[0:1], 0, v80
	s_waitcnt vmcnt(4)
	v_mul_f64 v[64:65], v[26:27], v[10:11]
	v_mul_f64 v[10:11], v[24:25], v[10:11]
	s_waitcnt vmcnt(3)
	v_mul_f64 v[66:67], v[38:39], v[2:3]
	v_mul_f64 v[2:3], v[36:37], v[2:3]
	v_fma_f64 v[24:25], v[24:25], v[8:9], -v[64:65]
	v_fma_f64 v[8:9], v[26:27], v[8:9], v[10:11]
	s_waitcnt vmcnt(2)
	v_mul_f64 v[10:11], v[42:43], v[14:15]
	v_mul_f64 v[14:15], v[40:41], v[14:15]
	s_waitcnt vmcnt(0)
	v_mul_f64 v[64:65], v[62:63], v[22:23]
	v_mul_f64 v[22:23], v[60:61], v[22:23]
	v_fma_f64 v[26:27], v[36:37], v[0:1], -v[66:67]
	v_fma_f64 v[36:37], v[38:39], v[0:1], v[2:3]
	v_mul_f64 v[38:39], v[58:59], v[18:19]
	v_mul_f64 v[18:19], v[56:57], v[18:19]
	v_add_f64 v[0:1], v[28:29], -v[24:25]
	v_fma_f64 v[24:25], v[40:41], v[12:13], -v[10:11]
	v_fma_f64 v[40:41], v[42:43], v[12:13], v[14:15]
	v_add_f64 v[2:3], v[30:31], -v[8:9]
	v_add_f64 v[12:13], v[32:33], -v[26:27]
	;; [unrolled: 1-line block ×3, first 2 shown]
	v_fma_f64 v[38:39], v[56:57], v[16:17], -v[38:39]
	v_fma_f64 v[42:43], v[58:59], v[16:17], v[18:19]
	v_fma_f64 v[56:57], v[60:61], v[20:21], -v[64:65]
	v_fma_f64 v[58:59], v[62:63], v[20:21], v[22:23]
	v_add_f64 v[16:17], v[48:49], -v[24:25]
	v_add_f64 v[18:19], v[50:51], -v[40:41]
	v_fma_f64 v[8:9], v[28:29], 2.0, -v[0:1]
	v_fma_f64 v[10:11], v[30:31], 2.0, -v[2:3]
	v_add_f64 v[20:21], v[52:53], -v[38:39]
	v_add_f64 v[22:23], v[54:55], -v[42:43]
	;; [unrolled: 1-line block ×4, first 2 shown]
	v_fma_f64 v[28:29], v[32:33], 2.0, -v[12:13]
	v_fma_f64 v[30:31], v[34:35], 2.0, -v[14:15]
	;; [unrolled: 1-line block ×8, first 2 shown]
	ds_write_b128 v86, v[8:11]
	ds_write_b128 v86, v[0:3] offset:4480
	ds_write_b128 v87, v[28:31]
	ds_write_b128 v87, v[12:15] offset:4480
	ds_write_b128 v86, v[32:35] offset:1792
	;; [unrolled: 1-line block ×7, first 2 shown]
	s_waitcnt lgkmcnt(0)
	; wave barrier
	s_waitcnt lgkmcnt(0)
	ds_read_b128 v[0:3], v86
	v_lshlrev_b32_e32 v8, 4, v80
	v_sub_u32_e32 v12, 0, v8
                                        ; implicit-def: $vgpr10_vgpr11
                                        ; implicit-def: $vgpr8_vgpr9
	s_and_saveexec_b64 s[4:5], s[0:1]
	s_xor_b64 s[4:5], exec, s[4:5]
	s_cbranch_execz .LBB0_21
; %bb.20:
	v_mov_b32_e32 v9, s7
	v_add_co_u32_e64 v8, s[0:1], s6, v4
	v_addc_co_u32_e64 v9, s[0:1], v9, v5, s[0:1]
	global_load_dwordx4 v[13:16], v[8:9], off
	ds_read_b128 v[8:11], v12 offset:8960
	s_waitcnt lgkmcnt(0)
	v_add_f64 v[17:18], v[0:1], -v[8:9]
	v_add_f64 v[19:20], v[2:3], v[10:11]
	v_add_f64 v[2:3], v[2:3], -v[10:11]
	v_add_f64 v[0:1], v[0:1], v[8:9]
	v_mul_f64 v[10:11], v[17:18], 0.5
	v_mul_f64 v[17:18], v[19:20], 0.5
	;; [unrolled: 1-line block ×3, first 2 shown]
	s_waitcnt vmcnt(0)
	v_mul_f64 v[8:9], v[10:11], v[15:16]
	v_fma_f64 v[19:20], v[17:18], v[15:16], v[2:3]
	v_fma_f64 v[2:3], v[17:18], v[15:16], -v[2:3]
	v_fma_f64 v[15:16], v[0:1], 0.5, v[8:9]
	v_fma_f64 v[0:1], v[0:1], 0.5, -v[8:9]
	v_fma_f64 v[19:20], -v[13:14], v[10:11], v[19:20]
	v_fma_f64 v[2:3], -v[13:14], v[10:11], v[2:3]
	ds_write_b64 v86, v[19:20] offset:8
	ds_write_b64 v12, v[2:3] offset:8968
	v_fma_f64 v[8:9], v[17:18], v[13:14], v[15:16]
	v_fma_f64 v[10:11], -v[17:18], v[13:14], v[0:1]
                                        ; implicit-def: $vgpr0_vgpr1
.LBB0_21:
	s_andn2_saveexec_b64 s[0:1], s[4:5]
	s_cbranch_execz .LBB0_23
; %bb.22:
	s_mov_b32 s4, 0
	s_mov_b32 s5, s4
	v_mov_b32_e32 v14, s5
	s_waitcnt lgkmcnt(0)
	v_add_f64 v[8:9], v[0:1], v[2:3]
	v_mov_b32_e32 v13, s4
	v_add_f64 v[10:11], v[0:1], -v[2:3]
	ds_write_b64 v86, v[13:14] offset:8
	ds_write_b64 v12, v[13:14] offset:8968
	v_mov_b32_e32 v2, 0
	ds_read_b64 v[0:1], v2 offset:4488
	s_waitcnt lgkmcnt(0)
	v_xor_b32_e32 v1, 0x80000000, v1
	ds_write_b64 v2, v[0:1] offset:4488
.LBB0_23:
	s_or_b64 exec, exec, s[0:1]
	s_waitcnt lgkmcnt(0)
	v_mov_b32_e32 v1, s7
	v_add_co_u32_e64 v0, s[0:1], s6, v6
	v_addc_co_u32_e64 v1, s[0:1], v1, v7, s[0:1]
	global_load_dwordx4 v[0:3], v[0:1], off
	v_mov_b32_e32 v6, s7
	v_add_co_u32_e64 v21, s[0:1], s6, v4
	v_addc_co_u32_e64 v22, s[0:1], v6, v5, s[0:1]
	global_load_dwordx4 v[13:16], v[21:22], off offset:1792
	ds_write_b64 v86, v[8:9]
	ds_write_b64 v12, v[10:11] offset:8960
	ds_read_b128 v[6:9], v87
	ds_read_b128 v[17:20], v12 offset:8064
	s_waitcnt lgkmcnt(0)
	v_add_f64 v[10:11], v[6:7], -v[17:18]
	v_add_f64 v[23:24], v[8:9], v[19:20]
	v_add_f64 v[8:9], v[8:9], -v[19:20]
	v_add_f64 v[6:7], v[6:7], v[17:18]
	v_mul_f64 v[10:11], v[10:11], 0.5
	v_mul_f64 v[19:20], v[23:24], 0.5
	;; [unrolled: 1-line block ×3, first 2 shown]
	s_waitcnt vmcnt(1)
	v_mul_f64 v[17:18], v[10:11], v[2:3]
	v_fma_f64 v[23:24], v[19:20], v[2:3], v[8:9]
	v_fma_f64 v[2:3], v[19:20], v[2:3], -v[8:9]
	v_fma_f64 v[8:9], v[6:7], 0.5, v[17:18]
	v_fma_f64 v[17:18], v[6:7], 0.5, -v[17:18]
	v_fma_f64 v[23:24], -v[0:1], v[10:11], v[23:24]
	v_fma_f64 v[2:3], -v[0:1], v[10:11], v[2:3]
	v_fma_f64 v[10:11], v[19:20], v[0:1], v[8:9]
	global_load_dwordx4 v[6:9], v[21:22], off offset:2688
	v_fma_f64 v[0:1], -v[19:20], v[0:1], v[17:18]
	ds_write2_b64 v87, v[10:11], v[23:24] offset1:1
	ds_write_b128 v12, v[0:3] offset:8064
	ds_read_b128 v[0:3], v86 offset:1792
	ds_read_b128 v[17:20], v12 offset:7168
	s_waitcnt lgkmcnt(0)
	v_add_f64 v[10:11], v[0:1], -v[17:18]
	v_add_f64 v[23:24], v[2:3], v[19:20]
	v_add_f64 v[2:3], v[2:3], -v[19:20]
	v_add_f64 v[0:1], v[0:1], v[17:18]
	v_mul_f64 v[10:11], v[10:11], 0.5
	v_mul_f64 v[19:20], v[23:24], 0.5
	v_mul_f64 v[2:3], v[2:3], 0.5
	s_waitcnt vmcnt(1)
	v_mul_f64 v[17:18], v[10:11], v[15:16]
	v_fma_f64 v[23:24], v[19:20], v[15:16], v[2:3]
	v_fma_f64 v[15:16], v[19:20], v[15:16], -v[2:3]
	v_fma_f64 v[25:26], v[0:1], 0.5, v[17:18]
	v_fma_f64 v[17:18], v[0:1], 0.5, -v[17:18]
	global_load_dwordx4 v[0:3], v[21:22], off offset:3584
	v_fma_f64 v[21:22], -v[13:14], v[10:11], v[23:24]
	v_fma_f64 v[15:16], -v[13:14], v[10:11], v[15:16]
	v_fma_f64 v[10:11], v[19:20], v[13:14], v[25:26]
	v_fma_f64 v[13:14], -v[19:20], v[13:14], v[17:18]
	ds_write2_b64 v86, v[10:11], v[21:22] offset0:224 offset1:225
	ds_write_b128 v12, v[13:16] offset:7168
	ds_read_b128 v[13:16], v86 offset:2688
	ds_read_b128 v[17:20], v12 offset:6272
	s_waitcnt lgkmcnt(0)
	v_add_f64 v[10:11], v[13:14], -v[17:18]
	v_add_f64 v[21:22], v[15:16], v[19:20]
	v_add_f64 v[15:16], v[15:16], -v[19:20]
	v_add_f64 v[13:14], v[13:14], v[17:18]
	v_mul_f64 v[10:11], v[10:11], 0.5
	v_mul_f64 v[19:20], v[21:22], 0.5
	;; [unrolled: 1-line block ×3, first 2 shown]
	s_waitcnt vmcnt(1)
	v_mul_f64 v[17:18], v[10:11], v[8:9]
	v_fma_f64 v[21:22], v[19:20], v[8:9], v[15:16]
	v_fma_f64 v[8:9], v[19:20], v[8:9], -v[15:16]
	v_fma_f64 v[15:16], v[13:14], 0.5, v[17:18]
	v_fma_f64 v[13:14], v[13:14], 0.5, -v[17:18]
	v_fma_f64 v[17:18], -v[6:7], v[10:11], v[21:22]
	v_fma_f64 v[8:9], -v[6:7], v[10:11], v[8:9]
	v_fma_f64 v[10:11], v[19:20], v[6:7], v[15:16]
	v_fma_f64 v[6:7], -v[19:20], v[6:7], v[13:14]
	v_add_u32_e32 v19, 0x800, v86
	ds_write2_b64 v19, v[10:11], v[17:18] offset0:80 offset1:81
	ds_write_b128 v12, v[6:9] offset:6272
	ds_read_b128 v[6:9], v86 offset:3584
	ds_read_b128 v[13:16], v12 offset:5376
	s_waitcnt lgkmcnt(0)
	v_add_f64 v[10:11], v[6:7], -v[13:14]
	v_add_f64 v[17:18], v[8:9], v[15:16]
	v_add_f64 v[8:9], v[8:9], -v[15:16]
	v_add_f64 v[6:7], v[6:7], v[13:14]
	v_mul_f64 v[10:11], v[10:11], 0.5
	v_mul_f64 v[15:16], v[17:18], 0.5
	;; [unrolled: 1-line block ×3, first 2 shown]
	s_waitcnt vmcnt(0)
	v_mul_f64 v[13:14], v[10:11], v[2:3]
	v_fma_f64 v[17:18], v[15:16], v[2:3], v[8:9]
	v_fma_f64 v[2:3], v[15:16], v[2:3], -v[8:9]
	v_fma_f64 v[8:9], v[6:7], 0.5, v[13:14]
	v_fma_f64 v[6:7], v[6:7], 0.5, -v[13:14]
	v_fma_f64 v[13:14], -v[0:1], v[10:11], v[17:18]
	v_fma_f64 v[2:3], -v[0:1], v[10:11], v[2:3]
	v_fma_f64 v[8:9], v[15:16], v[0:1], v[8:9]
	v_fma_f64 v[0:1], -v[15:16], v[0:1], v[6:7]
	ds_write2_b64 v19, v[8:9], v[13:14] offset0:192 offset1:193
	ds_write_b128 v12, v[0:3] offset:5376
	s_waitcnt lgkmcnt(0)
	; wave barrier
	s_waitcnt lgkmcnt(0)
	s_and_saveexec_b64 s[0:1], vcc
	s_cbranch_execz .LBB0_26
; %bb.24:
	ds_read_b128 v[6:9], v86
	v_mov_b32_e32 v0, s3
	v_add_co_u32_e32 v3, vcc, s2, v82
	v_addc_co_u32_e32 v2, vcc, v0, v83, vcc
	v_add_co_u32_e32 v0, vcc, v3, v4
	v_addc_co_u32_e32 v1, vcc, v2, v5, vcc
	ds_read_b128 v[10:13], v86 offset:896
	ds_read_b128 v[14:17], v86 offset:1792
	;; [unrolled: 1-line block ×3, first 2 shown]
	s_waitcnt lgkmcnt(3)
	global_store_dwordx4 v[0:1], v[6:9], off
	ds_read_b128 v[4:7], v86 offset:3584
	s_waitcnt lgkmcnt(3)
	global_store_dwordx4 v[0:1], v[10:13], off offset:896
	s_waitcnt lgkmcnt(2)
	global_store_dwordx4 v[0:1], v[14:17], off offset:1792
	;; [unrolled: 2-line block ×3, first 2 shown]
	ds_read_b128 v[8:11], v86 offset:4480
	s_waitcnt lgkmcnt(1)
	global_store_dwordx4 v[0:1], v[4:7], off offset:3584
	ds_read_b128 v[4:7], v86 offset:5376
	ds_read_b128 v[12:15], v86 offset:6272
	s_movk_i32 s0, 0x1000
	v_add_co_u32_e32 v16, vcc, s0, v0
	v_addc_co_u32_e32 v17, vcc, 0, v1, vcc
	s_waitcnt lgkmcnt(2)
	global_store_dwordx4 v[16:17], v[8:11], off offset:384
	s_waitcnt lgkmcnt(1)
	global_store_dwordx4 v[16:17], v[4:7], off offset:1280
	;; [unrolled: 2-line block ×3, first 2 shown]
	v_or_b32_e32 v0, 0x1c0, v80
	v_mov_b32_e32 v1, 0
	v_lshlrev_b64 v[12:13], 4, v[0:1]
	ds_read_b128 v[4:7], v86 offset:7168
	ds_read_b128 v[8:11], v86 offset:8064
	v_add_co_u32_e32 v12, vcc, v3, v12
	v_addc_co_u32_e32 v13, vcc, v2, v13, vcc
	v_cmp_eq_u32_e32 vcc, 55, v80
	s_waitcnt lgkmcnt(1)
	global_store_dwordx4 v[12:13], v[4:7], off
	s_waitcnt lgkmcnt(0)
	global_store_dwordx4 v[16:17], v[8:11], off offset:3968
	s_and_b64 exec, exec, vcc
	s_cbranch_execz .LBB0_26
; %bb.25:
	ds_read_b128 v[4:7], v1 offset:8960
	v_add_co_u32_e32 v0, vcc, 0x2000, v3
	v_addc_co_u32_e32 v1, vcc, 0, v2, vcc
	s_waitcnt lgkmcnt(0)
	global_store_dwordx4 v[0:1], v[4:7], off offset:768
.LBB0_26:
	s_endpgm
	.section	.rodata,"a",@progbits
	.p2align	6, 0x0
	.amdhsa_kernel fft_rtc_fwd_len560_factors_8_7_5_2_wgs_56_tpt_56_dp_ip_CI_unitstride_sbrr_R2C_dirReg
		.amdhsa_group_segment_fixed_size 0
		.amdhsa_private_segment_fixed_size 0
		.amdhsa_kernarg_size 88
		.amdhsa_user_sgpr_count 6
		.amdhsa_user_sgpr_private_segment_buffer 1
		.amdhsa_user_sgpr_dispatch_ptr 0
		.amdhsa_user_sgpr_queue_ptr 0
		.amdhsa_user_sgpr_kernarg_segment_ptr 1
		.amdhsa_user_sgpr_dispatch_id 0
		.amdhsa_user_sgpr_flat_scratch_init 0
		.amdhsa_user_sgpr_private_segment_size 0
		.amdhsa_uses_dynamic_stack 0
		.amdhsa_system_sgpr_private_segment_wavefront_offset 0
		.amdhsa_system_sgpr_workgroup_id_x 1
		.amdhsa_system_sgpr_workgroup_id_y 0
		.amdhsa_system_sgpr_workgroup_id_z 0
		.amdhsa_system_sgpr_workgroup_info 0
		.amdhsa_system_vgpr_workitem_id 0
		.amdhsa_next_free_vgpr 112
		.amdhsa_next_free_sgpr 28
		.amdhsa_reserve_vcc 1
		.amdhsa_reserve_flat_scratch 0
		.amdhsa_float_round_mode_32 0
		.amdhsa_float_round_mode_16_64 0
		.amdhsa_float_denorm_mode_32 3
		.amdhsa_float_denorm_mode_16_64 3
		.amdhsa_dx10_clamp 1
		.amdhsa_ieee_mode 1
		.amdhsa_fp16_overflow 0
		.amdhsa_exception_fp_ieee_invalid_op 0
		.amdhsa_exception_fp_denorm_src 0
		.amdhsa_exception_fp_ieee_div_zero 0
		.amdhsa_exception_fp_ieee_overflow 0
		.amdhsa_exception_fp_ieee_underflow 0
		.amdhsa_exception_fp_ieee_inexact 0
		.amdhsa_exception_int_div_zero 0
	.end_amdhsa_kernel
	.text
.Lfunc_end0:
	.size	fft_rtc_fwd_len560_factors_8_7_5_2_wgs_56_tpt_56_dp_ip_CI_unitstride_sbrr_R2C_dirReg, .Lfunc_end0-fft_rtc_fwd_len560_factors_8_7_5_2_wgs_56_tpt_56_dp_ip_CI_unitstride_sbrr_R2C_dirReg
                                        ; -- End function
	.section	.AMDGPU.csdata,"",@progbits
; Kernel info:
; codeLenInByte = 8436
; NumSgprs: 32
; NumVgprs: 112
; ScratchSize: 0
; MemoryBound: 0
; FloatMode: 240
; IeeeMode: 1
; LDSByteSize: 0 bytes/workgroup (compile time only)
; SGPRBlocks: 3
; VGPRBlocks: 27
; NumSGPRsForWavesPerEU: 32
; NumVGPRsForWavesPerEU: 112
; Occupancy: 2
; WaveLimiterHint : 1
; COMPUTE_PGM_RSRC2:SCRATCH_EN: 0
; COMPUTE_PGM_RSRC2:USER_SGPR: 6
; COMPUTE_PGM_RSRC2:TRAP_HANDLER: 0
; COMPUTE_PGM_RSRC2:TGID_X_EN: 1
; COMPUTE_PGM_RSRC2:TGID_Y_EN: 0
; COMPUTE_PGM_RSRC2:TGID_Z_EN: 0
; COMPUTE_PGM_RSRC2:TIDIG_COMP_CNT: 0
	.type	__hip_cuid_2fd5964239b7660,@object ; @__hip_cuid_2fd5964239b7660
	.section	.bss,"aw",@nobits
	.globl	__hip_cuid_2fd5964239b7660
__hip_cuid_2fd5964239b7660:
	.byte	0                               ; 0x0
	.size	__hip_cuid_2fd5964239b7660, 1

	.ident	"AMD clang version 19.0.0git (https://github.com/RadeonOpenCompute/llvm-project roc-6.4.0 25133 c7fe45cf4b819c5991fe208aaa96edf142730f1d)"
	.section	".note.GNU-stack","",@progbits
	.addrsig
	.addrsig_sym __hip_cuid_2fd5964239b7660
	.amdgpu_metadata
---
amdhsa.kernels:
  - .args:
      - .actual_access:  read_only
        .address_space:  global
        .offset:         0
        .size:           8
        .value_kind:     global_buffer
      - .offset:         8
        .size:           8
        .value_kind:     by_value
      - .actual_access:  read_only
        .address_space:  global
        .offset:         16
        .size:           8
        .value_kind:     global_buffer
      - .actual_access:  read_only
        .address_space:  global
        .offset:         24
        .size:           8
        .value_kind:     global_buffer
      - .offset:         32
        .size:           8
        .value_kind:     by_value
      - .actual_access:  read_only
        .address_space:  global
        .offset:         40
        .size:           8
        .value_kind:     global_buffer
      - .actual_access:  read_only
        .address_space:  global
        .offset:         48
        .size:           8
        .value_kind:     global_buffer
      - .offset:         56
        .size:           4
        .value_kind:     by_value
      - .actual_access:  read_only
        .address_space:  global
        .offset:         64
        .size:           8
        .value_kind:     global_buffer
      - .actual_access:  read_only
        .address_space:  global
        .offset:         72
        .size:           8
        .value_kind:     global_buffer
      - .address_space:  global
        .offset:         80
        .size:           8
        .value_kind:     global_buffer
    .group_segment_fixed_size: 0
    .kernarg_segment_align: 8
    .kernarg_segment_size: 88
    .language:       OpenCL C
    .language_version:
      - 2
      - 0
    .max_flat_workgroup_size: 56
    .name:           fft_rtc_fwd_len560_factors_8_7_5_2_wgs_56_tpt_56_dp_ip_CI_unitstride_sbrr_R2C_dirReg
    .private_segment_fixed_size: 0
    .sgpr_count:     32
    .sgpr_spill_count: 0
    .symbol:         fft_rtc_fwd_len560_factors_8_7_5_2_wgs_56_tpt_56_dp_ip_CI_unitstride_sbrr_R2C_dirReg.kd
    .uniform_work_group_size: 1
    .uses_dynamic_stack: false
    .vgpr_count:     112
    .vgpr_spill_count: 0
    .wavefront_size: 64
amdhsa.target:   amdgcn-amd-amdhsa--gfx906
amdhsa.version:
  - 1
  - 2
...

	.end_amdgpu_metadata
